;; amdgpu-corpus repo=ROCm/rocFFT kind=compiled arch=gfx906 opt=O3
	.text
	.amdgcn_target "amdgcn-amd-amdhsa--gfx906"
	.amdhsa_code_object_version 6
	.protected	fft_rtc_fwd_len1496_factors_17_8_11_wgs_187_tpt_187_halfLds_sp_op_CI_CI_sbrr_dirReg ; -- Begin function fft_rtc_fwd_len1496_factors_17_8_11_wgs_187_tpt_187_halfLds_sp_op_CI_CI_sbrr_dirReg
	.globl	fft_rtc_fwd_len1496_factors_17_8_11_wgs_187_tpt_187_halfLds_sp_op_CI_CI_sbrr_dirReg
	.p2align	8
	.type	fft_rtc_fwd_len1496_factors_17_8_11_wgs_187_tpt_187_halfLds_sp_op_CI_CI_sbrr_dirReg,@function
fft_rtc_fwd_len1496_factors_17_8_11_wgs_187_tpt_187_halfLds_sp_op_CI_CI_sbrr_dirReg: ; @fft_rtc_fwd_len1496_factors_17_8_11_wgs_187_tpt_187_halfLds_sp_op_CI_CI_sbrr_dirReg
; %bb.0:
	s_load_dwordx4 s[16:19], s[4:5], 0x18
	s_load_dwordx4 s[12:15], s[4:5], 0x0
	;; [unrolled: 1-line block ×3, first 2 shown]
	v_mul_u32_u24_e32 v1, 0x15f, v0
	v_add_u32_sdwa v10, s6, v1 dst_sel:DWORD dst_unused:UNUSED_PAD src0_sel:DWORD src1_sel:WORD_1
	s_waitcnt lgkmcnt(0)
	s_load_dwordx2 s[22:23], s[16:17], 0x0
	s_load_dwordx2 s[20:21], s[18:19], 0x0
	v_cmp_lt_u64_e64 s[0:1], s[14:15], 2
	v_mov_b32_e32 v1, 0
	v_mov_b32_e32 v8, 0
	;; [unrolled: 1-line block ×3, first 2 shown]
	s_and_b64 vcc, exec, s[0:1]
	v_mov_b32_e32 v9, 0
	s_cbranch_vccnz .LBB0_8
; %bb.1:
	s_load_dwordx2 s[0:1], s[4:5], 0x10
	s_add_u32 s2, s18, 8
	s_addc_u32 s3, s19, 0
	s_add_u32 s6, s16, 8
	s_addc_u32 s7, s17, 0
	v_mov_b32_e32 v8, 0
	s_waitcnt lgkmcnt(0)
	s_add_u32 s24, s0, 8
	v_mov_b32_e32 v9, 0
	v_mov_b32_e32 v4, v8
	s_addc_u32 s25, s1, 0
	s_mov_b64 s[26:27], 1
	v_mov_b32_e32 v5, v9
.LBB0_2:                                ; =>This Inner Loop Header: Depth=1
	s_load_dwordx2 s[28:29], s[24:25], 0x0
                                        ; implicit-def: $vgpr6_vgpr7
	s_waitcnt lgkmcnt(0)
	v_or_b32_e32 v2, s29, v11
	v_cmp_ne_u64_e32 vcc, 0, v[1:2]
	s_and_saveexec_b64 s[0:1], vcc
	s_xor_b64 s[30:31], exec, s[0:1]
	s_cbranch_execz .LBB0_4
; %bb.3:                                ;   in Loop: Header=BB0_2 Depth=1
	v_cvt_f32_u32_e32 v2, s28
	v_cvt_f32_u32_e32 v3, s29
	s_sub_u32 s0, 0, s28
	s_subb_u32 s1, 0, s29
	v_mac_f32_e32 v2, 0x4f800000, v3
	v_rcp_f32_e32 v2, v2
	v_mul_f32_e32 v2, 0x5f7ffffc, v2
	v_mul_f32_e32 v3, 0x2f800000, v2
	v_trunc_f32_e32 v3, v3
	v_mac_f32_e32 v2, 0xcf800000, v3
	v_cvt_u32_f32_e32 v3, v3
	v_cvt_u32_f32_e32 v2, v2
	v_mul_lo_u32 v6, s0, v3
	v_mul_hi_u32 v7, s0, v2
	v_mul_lo_u32 v13, s1, v2
	v_mul_lo_u32 v12, s0, v2
	v_add_u32_e32 v6, v7, v6
	v_add_u32_e32 v6, v6, v13
	v_mul_hi_u32 v7, v2, v12
	v_mul_lo_u32 v13, v2, v6
	v_mul_hi_u32 v15, v2, v6
	v_mul_hi_u32 v14, v3, v12
	v_mul_lo_u32 v12, v3, v12
	v_mul_hi_u32 v16, v3, v6
	v_add_co_u32_e32 v7, vcc, v7, v13
	v_addc_co_u32_e32 v13, vcc, 0, v15, vcc
	v_mul_lo_u32 v6, v3, v6
	v_add_co_u32_e32 v7, vcc, v7, v12
	v_addc_co_u32_e32 v7, vcc, v13, v14, vcc
	v_addc_co_u32_e32 v12, vcc, 0, v16, vcc
	v_add_co_u32_e32 v6, vcc, v7, v6
	v_addc_co_u32_e32 v7, vcc, 0, v12, vcc
	v_add_co_u32_e32 v2, vcc, v2, v6
	v_addc_co_u32_e32 v3, vcc, v3, v7, vcc
	v_mul_lo_u32 v6, s0, v3
	v_mul_hi_u32 v7, s0, v2
	v_mul_lo_u32 v12, s1, v2
	v_mul_lo_u32 v13, s0, v2
	v_add_u32_e32 v6, v7, v6
	v_add_u32_e32 v6, v6, v12
	v_mul_lo_u32 v14, v2, v6
	v_mul_hi_u32 v15, v2, v13
	v_mul_hi_u32 v16, v2, v6
	;; [unrolled: 1-line block ×3, first 2 shown]
	v_mul_lo_u32 v13, v3, v13
	v_mul_hi_u32 v7, v3, v6
	v_add_co_u32_e32 v14, vcc, v15, v14
	v_addc_co_u32_e32 v15, vcc, 0, v16, vcc
	v_mul_lo_u32 v6, v3, v6
	v_add_co_u32_e32 v13, vcc, v14, v13
	v_addc_co_u32_e32 v12, vcc, v15, v12, vcc
	v_addc_co_u32_e32 v7, vcc, 0, v7, vcc
	v_add_co_u32_e32 v6, vcc, v12, v6
	v_addc_co_u32_e32 v7, vcc, 0, v7, vcc
	v_add_co_u32_e32 v6, vcc, v2, v6
	v_addc_co_u32_e32 v7, vcc, v3, v7, vcc
	v_mad_u64_u32 v[2:3], s[0:1], v10, v7, 0
	v_mul_hi_u32 v12, v10, v6
	v_add_co_u32_e32 v12, vcc, v12, v2
	v_addc_co_u32_e32 v13, vcc, 0, v3, vcc
	v_mad_u64_u32 v[2:3], s[0:1], v11, v6, 0
	v_mad_u64_u32 v[6:7], s[0:1], v11, v7, 0
	v_add_co_u32_e32 v2, vcc, v12, v2
	v_addc_co_u32_e32 v2, vcc, v13, v3, vcc
	v_addc_co_u32_e32 v3, vcc, 0, v7, vcc
	v_add_co_u32_e32 v6, vcc, v2, v6
	v_addc_co_u32_e32 v7, vcc, 0, v3, vcc
	v_mul_lo_u32 v12, s29, v6
	v_mul_lo_u32 v13, s28, v7
	v_mad_u64_u32 v[2:3], s[0:1], s28, v6, 0
	v_add3_u32 v3, v3, v13, v12
	v_sub_u32_e32 v12, v11, v3
	v_mov_b32_e32 v13, s29
	v_sub_co_u32_e32 v2, vcc, v10, v2
	v_subb_co_u32_e64 v12, s[0:1], v12, v13, vcc
	v_subrev_co_u32_e64 v13, s[0:1], s28, v2
	v_subbrev_co_u32_e64 v12, s[0:1], 0, v12, s[0:1]
	v_cmp_le_u32_e64 s[0:1], s29, v12
	v_cndmask_b32_e64 v14, 0, -1, s[0:1]
	v_cmp_le_u32_e64 s[0:1], s28, v13
	v_cndmask_b32_e64 v13, 0, -1, s[0:1]
	v_cmp_eq_u32_e64 s[0:1], s29, v12
	v_cndmask_b32_e64 v12, v14, v13, s[0:1]
	v_add_co_u32_e64 v13, s[0:1], 2, v6
	v_addc_co_u32_e64 v14, s[0:1], 0, v7, s[0:1]
	v_add_co_u32_e64 v15, s[0:1], 1, v6
	v_addc_co_u32_e64 v16, s[0:1], 0, v7, s[0:1]
	v_subb_co_u32_e32 v3, vcc, v11, v3, vcc
	v_cmp_ne_u32_e64 s[0:1], 0, v12
	v_cmp_le_u32_e32 vcc, s29, v3
	v_cndmask_b32_e64 v12, v16, v14, s[0:1]
	v_cndmask_b32_e64 v14, 0, -1, vcc
	v_cmp_le_u32_e32 vcc, s28, v2
	v_cndmask_b32_e64 v2, 0, -1, vcc
	v_cmp_eq_u32_e32 vcc, s29, v3
	v_cndmask_b32_e32 v2, v14, v2, vcc
	v_cmp_ne_u32_e32 vcc, 0, v2
	v_cndmask_b32_e64 v2, v15, v13, s[0:1]
	v_cndmask_b32_e32 v7, v7, v12, vcc
	v_cndmask_b32_e32 v6, v6, v2, vcc
.LBB0_4:                                ;   in Loop: Header=BB0_2 Depth=1
	s_andn2_saveexec_b64 s[0:1], s[30:31]
	s_cbranch_execz .LBB0_6
; %bb.5:                                ;   in Loop: Header=BB0_2 Depth=1
	v_cvt_f32_u32_e32 v2, s28
	s_sub_i32 s30, 0, s28
	v_rcp_iflag_f32_e32 v2, v2
	v_mul_f32_e32 v2, 0x4f7ffffe, v2
	v_cvt_u32_f32_e32 v2, v2
	v_mul_lo_u32 v3, s30, v2
	v_mul_hi_u32 v3, v2, v3
	v_add_u32_e32 v2, v2, v3
	v_mul_hi_u32 v2, v10, v2
	v_mul_lo_u32 v3, v2, s28
	v_add_u32_e32 v6, 1, v2
	v_sub_u32_e32 v3, v10, v3
	v_subrev_u32_e32 v7, s28, v3
	v_cmp_le_u32_e32 vcc, s28, v3
	v_cndmask_b32_e32 v3, v3, v7, vcc
	v_cndmask_b32_e32 v2, v2, v6, vcc
	v_add_u32_e32 v6, 1, v2
	v_cmp_le_u32_e32 vcc, s28, v3
	v_cndmask_b32_e32 v6, v2, v6, vcc
	v_mov_b32_e32 v7, v1
.LBB0_6:                                ;   in Loop: Header=BB0_2 Depth=1
	s_or_b64 exec, exec, s[0:1]
	v_mul_lo_u32 v12, v7, s28
	v_mul_lo_u32 v13, v6, s29
	v_mad_u64_u32 v[2:3], s[0:1], v6, s28, 0
	s_load_dwordx2 s[0:1], s[6:7], 0x0
	s_load_dwordx2 s[28:29], s[2:3], 0x0
	v_add3_u32 v3, v3, v13, v12
	v_sub_co_u32_e32 v2, vcc, v10, v2
	v_subb_co_u32_e32 v3, vcc, v11, v3, vcc
	s_waitcnt lgkmcnt(0)
	v_mul_lo_u32 v10, s0, v3
	v_mul_lo_u32 v11, s1, v2
	v_mad_u64_u32 v[8:9], s[0:1], s0, v2, v[8:9]
	v_mul_lo_u32 v3, s28, v3
	v_mul_lo_u32 v12, s29, v2
	v_mad_u64_u32 v[4:5], s[0:1], s28, v2, v[4:5]
	s_add_u32 s26, s26, 1
	s_addc_u32 s27, s27, 0
	s_add_u32 s2, s2, 8
	v_add3_u32 v5, v12, v5, v3
	s_addc_u32 s3, s3, 0
	v_mov_b32_e32 v2, s14
	s_add_u32 s6, s6, 8
	v_mov_b32_e32 v3, s15
	s_addc_u32 s7, s7, 0
	v_cmp_ge_u64_e32 vcc, s[26:27], v[2:3]
	s_add_u32 s24, s24, 8
	v_add3_u32 v9, v11, v9, v10
	s_addc_u32 s25, s25, 0
	s_cbranch_vccnz .LBB0_9
; %bb.7:                                ;   in Loop: Header=BB0_2 Depth=1
	v_mov_b32_e32 v11, v7
	v_mov_b32_e32 v10, v6
	s_branch .LBB0_2
.LBB0_8:
	v_mov_b32_e32 v4, v8
	v_mov_b32_e32 v6, v10
	;; [unrolled: 1-line block ×4, first 2 shown]
.LBB0_9:
	s_load_dwordx2 s[0:1], s[4:5], 0x28
	s_mov_b32 s4, 0x15e75bc
	v_mul_hi_u32 v1, v0, s4
	s_lshl_b64 s[2:3], s[14:15], 3
	s_add_u32 s4, s18, s2
	s_waitcnt lgkmcnt(0)
	v_cmp_gt_u64_e32 vcc, s[0:1], v[6:7]
	v_mul_u32_u24_e32 v1, 0xbb, v1
	v_sub_u32_e32 v49, v0, v1
	s_movk_i32 s0, 0x58
	v_cmp_gt_u32_e64 s[0:1], s0, v49
	s_addc_u32 s5, s19, s3
	s_and_b64 s[14:15], vcc, s[0:1]
	v_mov_b32_e32 v1, 0
	v_mov_b32_e32 v0, 0
                                        ; implicit-def: $vgpr3
                                        ; implicit-def: $vgpr12
                                        ; implicit-def: $vgpr14
                                        ; implicit-def: $vgpr16
                                        ; implicit-def: $vgpr18
                                        ; implicit-def: $vgpr20
                                        ; implicit-def: $vgpr22
                                        ; implicit-def: $vgpr24
                                        ; implicit-def: $vgpr40
                                        ; implicit-def: $vgpr38
                                        ; implicit-def: $vgpr26
                                        ; implicit-def: $vgpr28
                                        ; implicit-def: $vgpr30
                                        ; implicit-def: $vgpr32
                                        ; implicit-def: $vgpr34
                                        ; implicit-def: $vgpr36
	s_and_saveexec_b64 s[6:7], s[14:15]
	s_cbranch_execz .LBB0_11
; %bb.10:
	s_add_u32 s2, s16, s2
	s_addc_u32 s3, s17, s3
	s_load_dwordx2 s[2:3], s[2:3], 0x0
	v_mad_u64_u32 v[0:1], s[14:15], s22, v49, 0
	s_waitcnt lgkmcnt(0)
	v_mul_lo_u32 v12, s3, v6
	v_mul_lo_u32 v13, s2, v7
	v_mad_u64_u32 v[2:3], s[2:3], s2, v6, 0
	v_mad_u64_u32 v[10:11], s[2:3], s23, v49, v[1:2]
	v_add3_u32 v3, v3, v13, v12
	v_lshlrev_b64 v[2:3], 3, v[2:3]
	v_mov_b32_e32 v1, v10
	v_mov_b32_e32 v10, s9
	v_add_co_u32_e64 v11, s[2:3], s8, v2
	v_add_u32_e32 v12, 0x58, v49
	v_addc_co_u32_e64 v10, s[2:3], v10, v3, s[2:3]
	v_lshlrev_b64 v[2:3], 3, v[8:9]
	v_mad_u64_u32 v[8:9], s[2:3], s22, v12, 0
	v_add_co_u32_e64 v13, s[2:3], v11, v2
	v_mov_b32_e32 v2, v9
	v_addc_co_u32_e64 v14, s[2:3], v10, v3, s[2:3]
	v_mad_u64_u32 v[2:3], s[2:3], s23, v12, v[2:3]
	v_add_u32_e32 v3, 0xb0, v49
	v_mad_u64_u32 v[10:11], s[2:3], s22, v3, 0
	v_lshlrev_b64 v[0:1], 3, v[0:1]
	v_mov_b32_e32 v9, v2
	v_add_co_u32_e64 v37, s[2:3], v13, v0
	v_mov_b32_e32 v2, v11
	v_addc_co_u32_e64 v38, s[2:3], v14, v1, s[2:3]
	v_mad_u64_u32 v[2:3], s[2:3], s23, v3, v[2:3]
	v_add_u32_e32 v3, 0x108, v49
	v_lshlrev_b64 v[0:1], 3, v[8:9]
	v_mad_u64_u32 v[8:9], s[2:3], s22, v3, 0
	v_add_co_u32_e64 v39, s[2:3], v13, v0
	v_mov_b32_e32 v11, v2
	v_mov_b32_e32 v2, v9
	v_addc_co_u32_e64 v40, s[2:3], v14, v1, s[2:3]
	v_mad_u64_u32 v[2:3], s[2:3], s23, v3, v[2:3]
	v_add_u32_e32 v3, 0x160, v49
	v_lshlrev_b64 v[0:1], 3, v[10:11]
	v_mad_u64_u32 v[10:11], s[2:3], s22, v3, 0
	v_add_co_u32_e64 v41, s[2:3], v13, v0
	v_mov_b32_e32 v9, v2
	;; [unrolled: 8-line block ×13, first 2 shown]
	v_mov_b32_e32 v2, v9
	v_addc_co_u32_e64 v65, s[2:3], v14, v1, s[2:3]
	v_mad_u64_u32 v[2:3], s[2:3], s23, v3, v[2:3]
	v_or_b32_e32 v3, 0x580, v49
	v_lshlrev_b64 v[0:1], 3, v[10:11]
	v_mad_u64_u32 v[10:11], s[2:3], s22, v3, 0
	v_add_co_u32_e64 v66, s[2:3], v13, v0
	v_mov_b32_e32 v9, v2
	v_mov_b32_e32 v2, v11
	v_addc_co_u32_e64 v67, s[2:3], v14, v1, s[2:3]
	v_mad_u64_u32 v[2:3], s[2:3], s23, v3, v[2:3]
	v_lshlrev_b64 v[0:1], 3, v[8:9]
	v_add_co_u32_e64 v8, s[2:3], v13, v0
	v_mov_b32_e32 v11, v2
	v_addc_co_u32_e64 v9, s[2:3], v14, v1, s[2:3]
	v_lshlrev_b64 v[0:1], 3, v[10:11]
	v_add_co_u32_e64 v68, s[2:3], v13, v0
	v_addc_co_u32_e64 v69, s[2:3], v14, v1, s[2:3]
	global_load_dwordx2 v[0:1], v[37:38], off
	global_load_dwordx2 v[2:3], v[39:40], off
	;; [unrolled: 1-line block ×15, first 2 shown]
                                        ; kill: killed $vgpr41 killed $vgpr42
                                        ; kill: killed $vgpr66 killed $vgpr67
                                        ; kill: killed $vgpr56 killed $vgpr57
                                        ; kill: killed $vgpr45 killed $vgpr46
                                        ; kill: killed $vgpr60 killed $vgpr61
                                        ; kill: killed $vgpr50 killed $vgpr51
                                        ; kill: killed $vgpr39 killed $vgpr40
                                        ; kill: killed $vgpr64 killed $vgpr65
                                        ; kill: killed $vgpr54 killed $vgpr55
                                        ; kill: killed $vgpr43 killed $vgpr44
                                        ; kill: killed $vgpr58 killed $vgpr59
                                        ; kill: killed $vgpr47 killed $vgpr48
                                        ; kill: killed $vgpr37 killed $vgpr38
                                        ; kill: killed $vgpr62 killed $vgpr63
                                        ; kill: killed $vgpr52 killed $vgpr53
	global_load_dwordx2 v[37:38], v[8:9], off
	global_load_dwordx2 v[39:40], v[68:69], off
.LBB0_11:
	s_or_b64 exec, exec, s[6:7]
	s_waitcnt vmcnt(0)
	v_add_f32_e32 v10, v2, v39
	v_sub_f32_e32 v43, v3, v40
	v_mul_f32_e32 v8, 0xbf7ba420, v10
	v_add_f32_e32 v41, v11, v37
	v_mov_b32_e32 v9, v8
	v_fmac_f32_e32 v8, 0xbe3c28d5, v43
	v_sub_f32_e32 v45, v12, v38
	v_mul_f32_e32 v42, 0x3f6eb680, v41
	v_fmac_f32_e32 v9, 0x3e3c28d5, v43
	v_add_f32_e32 v8, v0, v8
	v_mov_b32_e32 v44, v42
	v_fmac_f32_e32 v42, 0x3eb8f4ab, v45
	v_add_f32_e32 v9, v0, v9
	v_fmac_f32_e32 v44, 0xbeb8f4ab, v45
	v_add_f32_e32 v8, v8, v42
	v_add_f32_e32 v42, v13, v25
	v_add_f32_e32 v9, v9, v44
	v_sub_f32_e32 v47, v14, v26
	v_mul_f32_e32 v44, 0xbf59a7d5, v42
	v_mov_b32_e32 v46, v44
	v_fmac_f32_e32 v44, 0xbf06c442, v47
	v_fmac_f32_e32 v46, 0x3f06c442, v47
	v_add_f32_e32 v8, v8, v44
	v_add_f32_e32 v44, v15, v27
	v_add_f32_e32 v9, v9, v46
	v_sub_f32_e32 v51, v16, v28
	v_mul_f32_e32 v46, 0x3f3d2fb0, v44
	v_mov_b32_e32 v48, v46
	v_fmac_f32_e32 v46, 0x3f2c7751, v51
	;; [unrolled: 8-line block ×3, first 2 shown]
	v_fmac_f32_e32 v50, 0x3f4c4adb, v53
	v_add_f32_e32 v8, v8, v48
	v_add_f32_e32 v48, v19, v31
	;; [unrolled: 1-line block ×3, first 2 shown]
	v_mul_f32_e32 v50, 0x3ee437d1, v48
	v_sub_f32_e32 v54, v20, v32
	v_mov_b32_e32 v52, v50
	v_fmac_f32_e32 v52, 0xbf65296c, v54
	v_add_f32_e32 v9, v9, v52
	v_fmac_f32_e32 v50, 0x3f65296c, v54
	v_add_f32_e32 v52, v21, v33
	v_add_f32_e32 v8, v8, v50
	v_mul_f32_e32 v50, 0xbe8c1d8e, v52
	v_sub_f32_e32 v56, v22, v34
	v_mov_b32_e32 v55, v50
	v_fmac_f32_e32 v55, 0x3f763a35, v56
	v_add_f32_e32 v9, v9, v55
	v_add_f32_e32 v55, v23, v35
	v_fmac_f32_e32 v50, 0xbf763a35, v56
	v_mul_f32_e32 v58, 0x3dbcf732, v55
	v_add_f32_e32 v50, v8, v50
	v_sub_f32_e32 v57, v24, v36
	v_mov_b32_e32 v8, v58
	v_fmac_f32_e32 v8, 0xbf7ee86f, v57
	v_fmac_f32_e32 v58, 0x3f7ee86f, v57
	v_add_f32_e32 v8, v9, v8
	v_add_f32_e32 v9, v50, v58
	v_mul_f32_e32 v58, 0xbf59a7d5, v10
	v_mov_b32_e32 v50, v58
	v_mul_f32_e32 v59, 0x3ee437d1, v41
	v_fmac_f32_e32 v50, 0xbf06c442, v43
	v_mov_b32_e32 v60, v59
	v_add_f32_e32 v50, v0, v50
	v_fmac_f32_e32 v60, 0x3f65296c, v45
	v_add_f32_e32 v50, v50, v60
	v_mul_f32_e32 v60, 0x3dbcf732, v42
	v_mov_b32_e32 v61, v60
	v_fmac_f32_e32 v61, 0xbf7ee86f, v47
	v_add_f32_e32 v50, v50, v61
	v_mul_f32_e32 v61, 0xbf1a4643, v44
	v_mov_b32_e32 v62, v61
	;; [unrolled: 4-line block ×6, first 2 shown]
	v_fmac_f32_e32 v66, 0xbf763a35, v57
	v_add_f32_e32 v50, v50, v66
	s_mov_b32 s17, 0xbf59a7d5
	s_mov_b32 s14, 0xbf7ba420
	;; [unrolled: 1-line block ×8, first 2 shown]
	s_and_saveexec_b64 s[2:3], s[0:1]
	s_cbranch_execz .LBB0_13
; %bb.12:
	v_mul_f32_e32 v66, 0xbf06c442, v43
	v_mul_f32_e32 v67, 0x3f65296c, v45
	v_sub_f32_e32 v58, v58, v66
	v_mul_f32_e32 v68, 0xbf7ee86f, v47
	v_add_f32_e32 v58, v0, v58
	v_sub_f32_e32 v59, v59, v67
	v_mul_f32_e32 v69, 0x3f4c4adb, v51
	v_add_f32_e32 v58, v58, v59
	;; [unrolled: 3-line block ×6, first 2 shown]
	v_sub_f32_e32 v59, v64, v72
	v_add_f32_e32 v58, v58, v59
	v_sub_f32_e32 v59, v65, v73
	v_add_f32_e32 v58, v58, v59
	v_mul_f32_e32 v59, 0xbf4c4adb, v43
	v_mov_b32_e32 v60, v59
	v_mul_f32_e32 v61, 0x3f763a35, v45
	v_fmac_f32_e32 v60, 0xbf1a4643, v10
	v_mov_b32_e32 v62, v61
	v_add_f32_e32 v60, v0, v60
	v_fmac_f32_e32 v62, 0xbe8c1d8e, v41
	v_add_f32_e32 v60, v60, v62
	v_mul_f32_e32 v62, 0xbeb8f4ab, v47
	v_mov_b32_e32 v63, v62
	v_fmac_f32_e32 v63, 0x3f6eb680, v42
	v_add_f32_e32 v60, v60, v63
	v_mul_f32_e32 v63, 0xbf06c442, v51
	v_mov_b32_e32 v64, v63
	;; [unrolled: 4-line block ×3, first 2 shown]
	v_fmac_f32_e32 v65, 0x3dbcf732, v46
	v_add_f32_e32 v60, v60, v65
	v_mul_f32_e32 v65, 0xbf2c7751, v54
	v_fma_f32 v59, v10, s15, -v59
	v_mov_b32_e32 v66, v65
	v_add_f32_e32 v59, v0, v59
	v_fma_f32 v61, v41, s7, -v61
	v_fmac_f32_e32 v66, 0x3f3d2fb0, v48
	v_add_f32_e32 v59, v59, v61
	v_fma_f32 v61, v42, s16, -v62
	v_add_f32_e32 v60, v60, v66
	v_mul_f32_e32 v66, 0xbe3c28d5, v56
	v_add_f32_e32 v59, v59, v61
	v_fma_f32 v61, v44, s17, -v63
	v_mov_b32_e32 v67, v66
	v_add_f32_e32 v59, v59, v61
	v_fma_f32 v61, v46, s6, -v64
	v_fmac_f32_e32 v67, 0xbf7ba420, v52
	v_add_f32_e32 v59, v59, v61
	v_fma_f32 v61, v48, s8, -v65
	v_add_f32_e32 v60, v60, v67
	v_mul_f32_e32 v67, 0x3f65296c, v57
	v_add_f32_e32 v59, v59, v61
	v_fma_f32 v61, v52, s14, -v66
	v_add_f32_e32 v59, v59, v61
	v_fma_f32 v61, v55, s9, -v67
	v_add_f32_e32 v59, v59, v61
	v_mul_f32_e32 v61, 0xbf763a35, v43
	v_mov_b32_e32 v62, v61
	v_mul_f32_e32 v63, 0x3f06c442, v45
	v_fmac_f32_e32 v62, 0xbe8c1d8e, v10
	v_mov_b32_e32 v64, v63
	v_add_f32_e32 v62, v0, v62
	v_fmac_f32_e32 v64, 0xbf59a7d5, v41
	v_add_f32_e32 v62, v62, v64
	v_mul_f32_e32 v64, 0x3f2c7751, v47
	v_mov_b32_e32 v65, v64
	v_fmac_f32_e32 v65, 0x3f3d2fb0, v42
	v_add_f32_e32 v62, v62, v65
	v_mul_f32_e32 v65, 0xbf65296c, v51
	v_mov_b32_e32 v66, v65
	v_fmac_f32_e32 v66, 0x3ee437d1, v44
	v_add_f32_e32 v62, v62, v66
	v_mul_f32_e32 v66, 0xbe3c28d5, v53
	v_mov_b32_e32 v68, v67
	v_mov_b32_e32 v67, v66
	v_fmac_f32_e32 v67, 0xbf7ba420, v46
	v_fmac_f32_e32 v68, 0x3ee437d1, v55
	v_add_f32_e32 v62, v62, v67
	v_mul_f32_e32 v67, 0x3f7ee86f, v54
	v_fma_f32 v61, v10, s7, -v61
	v_add_f32_e32 v60, v60, v68
	v_mov_b32_e32 v68, v67
	v_add_f32_e32 v61, v0, v61
	v_fma_f32 v63, v41, s17, -v63
	v_fmac_f32_e32 v68, 0x3dbcf732, v48
	v_add_f32_e32 v61, v61, v63
	v_fma_f32 v63, v42, s8, -v64
	v_add_f32_e32 v62, v62, v68
	v_mul_f32_e32 v68, 0xbeb8f4ab, v56
	v_add_f32_e32 v61, v61, v63
	v_fma_f32 v63, v44, s9, -v65
	v_mov_b32_e32 v69, v68
	v_add_f32_e32 v61, v61, v63
	v_fma_f32 v63, v46, s14, -v66
	v_fmac_f32_e32 v69, 0x3f6eb680, v52
	v_add_f32_e32 v61, v61, v63
	v_fma_f32 v63, v48, s6, -v67
	v_add_f32_e32 v62, v62, v69
	v_mul_f32_e32 v69, 0xbf4c4adb, v57
	v_add_f32_e32 v61, v61, v63
	v_fma_f32 v63, v52, s16, -v68
	v_add_f32_e32 v61, v61, v63
	v_fma_f32 v63, v55, s15, -v69
	v_add_f32_e32 v61, v61, v63
	v_mul_f32_e32 v63, 0xbf7ee86f, v43
	v_mov_b32_e32 v64, v63
	v_mul_f32_e32 v65, 0xbe3c28d5, v45
	v_fmac_f32_e32 v64, 0x3dbcf732, v10
	v_mov_b32_e32 v66, v65
	v_add_f32_e32 v64, v0, v64
	v_fmac_f32_e32 v66, 0xbf7ba420, v41
	v_add_f32_e32 v64, v64, v66
	v_mul_f32_e32 v66, 0x3f763a35, v47
	v_mov_b32_e32 v67, v66
	v_fmac_f32_e32 v67, 0xbe8c1d8e, v42
	v_add_f32_e32 v64, v64, v67
	v_mul_f32_e32 v67, 0x3eb8f4ab, v51
	v_mov_b32_e32 v68, v67
	v_fmac_f32_e32 v68, 0x3f6eb680, v44
	v_add_f32_e32 v64, v64, v68
	v_mul_f32_e32 v68, 0xbf65296c, v53
	v_mov_b32_e32 v70, v69
	v_mov_b32_e32 v69, v68
	v_fmac_f32_e32 v69, 0x3ee437d1, v46
	v_fmac_f32_e32 v70, 0xbf1a4643, v55
	v_add_f32_e32 v64, v64, v69
	v_mul_f32_e32 v69, 0xbf06c442, v54
	v_fma_f32 v63, v10, s6, -v63
	v_add_f32_e32 v62, v62, v70
	;; [unrolled: 48-line block ×4, first 2 shown]
	v_mov_b32_e32 v74, v73
	v_add_f32_e32 v67, v0, v67
	v_fma_f32 v69, v41, s6, -v69
	v_fmac_f32_e32 v74, 0xbe8c1d8e, v48
	v_add_f32_e32 v67, v67, v69
	v_fma_f32 v69, v42, s15, -v70
	v_add_f32_e32 v68, v68, v74
	v_mul_f32_e32 v74, 0x3f65296c, v56
	v_add_f32_e32 v67, v67, v69
	v_fma_f32 v69, v44, s14, -v71
	v_mov_b32_e32 v75, v74
	v_add_f32_e32 v67, v67, v69
	v_fma_f32 v69, v46, s17, -v72
	v_fmac_f32_e32 v75, 0x3ee437d1, v52
	v_add_f32_e32 v67, v67, v69
	v_fma_f32 v69, v48, s7, -v73
	v_add_f32_e32 v68, v68, v75
	v_mul_f32_e32 v75, 0x3eb8f4ab, v57
	v_add_f32_e32 v67, v67, v69
	v_fma_f32 v69, v52, s9, -v74
	v_add_f32_e32 v67, v67, v69
	v_fma_f32 v69, v55, s16, -v75
	v_mul_f32_e32 v43, 0xbeb8f4ab, v43
	v_add_f32_e32 v67, v67, v69
	v_mov_b32_e32 v69, v43
	v_fmac_f32_e32 v69, 0x3f6eb680, v10
	v_fma_f32 v10, v10, s16, -v43
	v_add_f32_e32 v69, v0, v69
	v_add_f32_e32 v10, v0, v10
	;; [unrolled: 1-line block ×3, first 2 shown]
	v_mul_f32_e32 v45, 0xbf2c7751, v45
	v_add_f32_e32 v0, v0, v11
	v_mov_b32_e32 v70, v45
	v_add_f32_e32 v0, v0, v13
	v_fmac_f32_e32 v70, 0x3f3d2fb0, v41
	v_mul_f32_e32 v47, 0xbf65296c, v47
	v_add_f32_e32 v0, v0, v15
	v_add_f32_e32 v69, v69, v70
	v_mov_b32_e32 v70, v47
	v_add_f32_e32 v0, v0, v17
	v_fmac_f32_e32 v70, 0x3ee437d1, v42
	v_mul_f32_e32 v51, 0xbf7ee86f, v51
	v_add_f32_e32 v0, v0, v19
	;; [unrolled: 6-line block ×3, first 2 shown]
	v_add_f32_e32 v69, v69, v70
	v_mov_b32_e32 v70, v53
	v_fma_f32 v41, v41, s8, -v45
	v_add_f32_e32 v0, v0, v35
	v_fmac_f32_e32 v70, 0xbe8c1d8e, v46
	v_mul_f32_e32 v54, 0xbf4c4adb, v54
	v_add_f32_e32 v10, v10, v41
	v_fma_f32 v41, v42, s9, -v47
	v_add_f32_e32 v0, v33, v0
	v_add_f32_e32 v69, v69, v70
	v_mov_b32_e32 v70, v54
	v_add_f32_e32 v10, v10, v41
	v_fma_f32 v41, v44, s6, -v51
	v_add_f32_e32 v0, v31, v0
	v_fmac_f32_e32 v70, 0xbf1a4643, v48
	v_mul_f32_e32 v56, 0xbf06c442, v56
	v_add_f32_e32 v10, v10, v41
	v_fma_f32 v41, v46, s7, -v53
	v_add_f32_e32 v0, v29, v0
	v_add_f32_e32 v69, v69, v70
	v_mov_b32_e32 v70, v56
	v_add_f32_e32 v10, v10, v41
	v_fma_f32 v41, v48, s15, -v54
	v_add_f32_e32 v0, v27, v0
	v_fmac_f32_e32 v70, 0xbf59a7d5, v52
	v_mul_f32_e32 v57, 0xbe3c28d5, v57
	v_add_f32_e32 v10, v10, v41
	v_fma_f32 v41, v52, s17, -v56
	v_add_f32_e32 v0, v25, v0
	v_mov_b32_e32 v76, v75
	v_add_f32_e32 v69, v69, v70
	v_mov_b32_e32 v70, v57
	v_add_f32_e32 v10, v10, v41
	v_fma_f32 v41, v55, s14, -v57
	v_add_f32_e32 v0, v37, v0
	s_movk_i32 s18, 0x44
	v_fmac_f32_e32 v76, 0x3f6eb680, v55
	v_fmac_f32_e32 v70, 0xbf7ba420, v55
	v_add_f32_e32 v10, v10, v41
	v_add_f32_e32 v0, v39, v0
	v_mad_u32_u24 v41, v49, s18, 0
	v_add_f32_e32 v68, v68, v76
	v_add_f32_e32 v69, v69, v70
	ds_write2_b32 v41, v0, v10 offset1:1
	ds_write2_b32 v41, v67, v65 offset0:2 offset1:3
	ds_write2_b32 v41, v63, v61 offset0:4 offset1:5
	;; [unrolled: 1-line block ×7, first 2 shown]
	ds_write_b32 v41, v69 offset:64
.LBB0_13:
	s_or_b64 exec, exec, s[2:3]
	v_sub_f32_e32 v66, v2, v39
	v_add_f32_e32 v64, v3, v40
	v_mul_f32_e32 v65, 0xbf06c442, v66
	v_sub_f32_e32 v63, v11, v37
	v_fma_f32 v0, v64, s17, -v65
	v_add_f32_e32 v61, v12, v38
	v_mul_f32_e32 v62, 0x3f65296c, v63
	v_add_f32_e32 v0, v1, v0
	v_mul_f32_e32 v2, 0xbe3c28d5, v66
	v_fma_f32 v11, v61, s9, -v62
	v_mov_b32_e32 v10, v2
	v_fma_f32 v2, v64, s14, -v2
	v_add_f32_e32 v0, v0, v11
	v_mul_f32_e32 v11, 0x3eb8f4ab, v63
	v_sub_f32_e32 v60, v13, v25
	v_add_f32_e32 v2, v1, v2
	v_mov_b32_e32 v37, v11
	v_fma_f32 v11, v61, s16, -v11
	v_add_f32_e32 v58, v14, v26
	v_mul_f32_e32 v59, 0xbf7ee86f, v60
	v_add_f32_e32 v2, v2, v11
	v_fma_f32 v11, v58, s6, -v59
	v_add_f32_e32 v0, v0, v11
	v_mul_f32_e32 v11, 0xbf06c442, v60
	v_sub_f32_e32 v57, v15, v27
	v_fmac_f32_e32 v10, 0xbf7ba420, v64
	v_mov_b32_e32 v13, v11
	v_fma_f32 v11, v58, s17, -v11
	v_add_f32_e32 v55, v16, v28
	v_mul_f32_e32 v56, 0x3f4c4adb, v57
	v_add_f32_e32 v10, v1, v10
	v_fmac_f32_e32 v37, 0x3f6eb680, v61
	v_add_f32_e32 v2, v2, v11
	v_fma_f32 v11, v55, s15, -v56
	v_add_f32_e32 v10, v10, v37
	v_fmac_f32_e32 v13, 0xbf59a7d5, v58
	v_add_f32_e32 v0, v0, v11
	v_mul_f32_e32 v11, 0x3f2c7751, v57
	v_sub_f32_e32 v54, v17, v29
	v_add_f32_e32 v10, v10, v13
	v_mov_b32_e32 v13, v11
	v_fma_f32 v11, v55, s8, -v11
	v_add_f32_e32 v52, v18, v30
	v_mul_f32_e32 v53, 0xbeb8f4ab, v54
	v_add_f32_e32 v2, v2, v11
	v_fma_f32 v11, v52, s16, -v53
	v_fmac_f32_e32 v13, 0x3f3d2fb0, v55
	v_add_f32_e32 v0, v0, v11
	v_mul_f32_e32 v11, 0xbf4c4adb, v54
	v_sub_f32_e32 v51, v19, v31
	v_add_f32_e32 v10, v10, v13
	v_mov_b32_e32 v13, v11
	v_fma_f32 v11, v52, s15, -v11
	v_add_f32_e32 v37, v20, v32
	v_mul_f32_e32 v39, 0xbe3c28d5, v51
	v_add_f32_e32 v2, v2, v11
	v_fma_f32 v11, v37, s14, -v39
	;; [unrolled: 11-line block ×3, first 2 shown]
	v_fmac_f32_e32 v13, 0x3ee437d1, v37
	v_add_f32_e32 v11, v0, v11
	v_mul_f32_e32 v0, 0xbf763a35, v31
	v_add_f32_e32 v10, v10, v13
	v_mov_b32_e32 v13, v0
	v_fma_f32 v0, v29, s7, -v0
	v_sub_f32_e32 v19, v23, v35
	v_fmac_f32_e32 v13, 0xbe8c1d8e, v29
	v_add_f32_e32 v33, v2, v0
	v_add_f32_e32 v0, v24, v36
	v_mul_f32_e32 v2, 0xbf763a35, v19
	v_add_f32_e32 v10, v10, v13
	v_fma_f32 v13, v0, s7, -v2
	v_add_f32_e32 v25, v11, v13
	v_mul_f32_e32 v11, 0x3f7ee86f, v19
	v_mov_b32_e32 v13, v11
	v_fmac_f32_e32 v13, 0x3dbcf732, v0
	v_lshl_add_u32 v27, v49, 2, 0
	v_add_f32_e32 v10, v10, v13
	v_add_u32_e32 v13, 0x500, v27
	v_add_u32_e32 v15, 0xb00, v27
	;; [unrolled: 1-line block ×3, first 2 shown]
	s_waitcnt lgkmcnt(0)
	s_barrier
	ds_read2_b32 v[43:44], v27 offset1:187
	ds_read2_b32 v[47:48], v13 offset0:54 offset1:241
	ds_read2_b32 v[41:42], v15 offset0:44 offset1:231
	;; [unrolled: 1-line block ×3, first 2 shown]
	v_fma_f32 v11, v0, s6, -v11
	v_add_f32_e32 v11, v33, v11
	s_waitcnt lgkmcnt(0)
	s_barrier
	s_and_saveexec_b64 s[2:3], s[0:1]
	s_cbranch_execz .LBB0_15
; %bb.14:
	v_add_f32_e32 v3, v1, v3
	v_add_f32_e32 v3, v3, v12
	;; [unrolled: 1-line block ×12, first 2 shown]
	v_mul_f32_e32 v32, 0xbf4c4adb, v66
	v_mul_f32_e32 v23, 0xbf59a7d5, v64
	v_add_f32_e32 v3, v28, v3
	v_mul_f32_e32 v12, 0xbeb8f4ab, v66
	s_mov_b32 s6, 0x3f6eb680
	v_mul_f32_e32 v16, 0xbf2c7751, v66
	s_mov_b32 s1, 0x3f3d2fb0
	;; [unrolled: 2-line block ×5, first 2 shown]
	s_mov_b32 s7, 0xbf1a4643
	v_mov_b32_e32 v34, v32
	v_add_f32_e32 v3, v26, v3
	v_fma_f32 v14, v64, s6, -v12
	v_fmac_f32_e32 v12, 0x3f6eb680, v64
	v_fma_f32 v18, v64, s1, -v16
	v_fmac_f32_e32 v16, 0x3f3d2fb0, v64
	;; [unrolled: 2-line block ×5, first 2 shown]
	v_fmac_f32_e32 v34, 0xbf1a4643, v64
	v_fma_f32 v32, v64, s7, -v32
	v_add_f32_e32 v23, v23, v65
	v_add_f32_e32 v12, v1, v12
	;; [unrolled: 1-line block ×14, first 2 shown]
	v_mul_f32_e32 v23, 0xbf2c7751, v63
	v_fma_f32 v36, v61, s1, -v23
	v_fmac_f32_e32 v23, 0x3f3d2fb0, v61
	v_add_f32_e32 v12, v12, v23
	v_mul_f32_e32 v23, 0xbf7ee86f, v63
	v_add_f32_e32 v14, v14, v36
	v_fma_f32 v36, v61, s8, -v23
	v_fmac_f32_e32 v23, 0x3dbcf732, v61
	v_add_f32_e32 v16, v16, v23
	v_mul_f32_e32 v23, 0xbf4c4adb, v63
	v_add_f32_e32 v18, v18, v36
	;; [unrolled: 5-line block ×3, first 2 shown]
	v_fma_f32 v36, v61, s14, -v23
	v_fmac_f32_e32 v23, 0xbf7ba420, v61
	v_add_f32_e32 v23, v24, v23
	v_add_f32_e32 v24, v26, v36
	v_mul_f32_e32 v26, 0x3f06c442, v63
	s_mov_b32 s9, 0xbf59a7d5
	v_fma_f32 v36, v61, s9, -v26
	v_fmac_f32_e32 v26, 0xbf59a7d5, v61
	v_add_f32_e32 v26, v28, v26
	v_add_f32_e32 v28, v30, v36
	v_mul_f32_e32 v30, 0x3f763a35, v63
	v_mul_f32_e32 v33, 0x3ee437d1, v61
	v_mov_b32_e32 v36, v30
	v_fma_f32 v30, v61, s15, -v30
	v_add_f32_e32 v30, v32, v30
	v_add_f32_e32 v32, v33, v62
	;; [unrolled: 1-line block ×3, first 2 shown]
	v_mul_f32_e32 v32, 0xbf65296c, v60
	v_fma_f32 v33, v58, s0, -v32
	v_fmac_f32_e32 v32, 0x3ee437d1, v58
	v_add_f32_e32 v12, v12, v32
	v_mul_f32_e32 v32, 0xbf4c4adb, v60
	v_add_f32_e32 v14, v14, v33
	v_fma_f32 v33, v58, s7, -v32
	v_fmac_f32_e32 v32, 0xbf1a4643, v58
	v_add_f32_e32 v16, v16, v32
	v_mul_f32_e32 v32, 0x3e3c28d5, v60
	v_add_f32_e32 v18, v18, v33
	;; [unrolled: 5-line block ×4, first 2 shown]
	v_fma_f32 v33, v58, s1, -v32
	v_fmac_f32_e32 v32, 0x3f3d2fb0, v58
	v_add_f32_e32 v26, v26, v32
	v_mul_f32_e32 v32, 0xbeb8f4ab, v60
	v_mul_f32_e32 v35, 0x3dbcf732, v58
	v_add_f32_e32 v28, v28, v33
	v_mov_b32_e32 v33, v32
	v_fma_f32 v32, v58, s6, -v32
	v_fmac_f32_e32 v36, 0xbe8c1d8e, v61
	v_add_f32_e32 v30, v30, v32
	v_add_f32_e32 v32, v35, v59
	;; [unrolled: 1-line block ×3, first 2 shown]
	v_fmac_f32_e32 v33, 0x3f6eb680, v58
	v_add_f32_e32 v1, v1, v32
	v_mul_f32_e32 v32, 0xbf7ee86f, v57
	v_add_f32_e32 v33, v34, v33
	v_fma_f32 v34, v55, s8, -v32
	v_fmac_f32_e32 v32, 0x3dbcf732, v55
	v_add_f32_e32 v12, v12, v32
	v_mul_f32_e32 v32, 0xbe3c28d5, v57
	v_add_f32_e32 v14, v14, v34
	v_fma_f32 v34, v55, s14, -v32
	v_fmac_f32_e32 v32, 0xbf7ba420, v55
	v_add_f32_e32 v16, v16, v32
	v_mul_f32_e32 v32, 0x3f763a35, v57
	v_add_f32_e32 v18, v18, v34
	v_fma_f32 v34, v55, s15, -v32
	v_fmac_f32_e32 v32, 0xbe8c1d8e, v55
	v_add_f32_e32 v20, v20, v32
	v_mul_f32_e32 v32, 0x3eb8f4ab, v57
	v_add_f32_e32 v22, v22, v34
	v_fma_f32 v34, v55, s6, -v32
	v_fmac_f32_e32 v32, 0x3f6eb680, v55
	v_add_f32_e32 v23, v23, v32
	v_mul_f32_e32 v32, 0xbf65296c, v57
	v_add_f32_e32 v24, v24, v34
	v_fma_f32 v34, v55, s0, -v32
	v_fmac_f32_e32 v32, 0x3ee437d1, v55
	v_add_f32_e32 v26, v26, v32
	v_mul_f32_e32 v32, 0xbf06c442, v57
	v_mul_f32_e32 v67, 0xbf1a4643, v55
	v_add_f32_e32 v28, v28, v34
	v_mov_b32_e32 v34, v32
	v_fma_f32 v32, v55, s9, -v32
	v_add_f32_e32 v30, v30, v32
	v_add_f32_e32 v32, v67, v56
	v_fmac_f32_e32 v34, 0xbf59a7d5, v55
	v_add_f32_e32 v1, v1, v32
	v_mul_f32_e32 v32, 0xbf763a35, v54
	v_add_f32_e32 v33, v33, v34
	v_fma_f32 v34, v52, s15, -v32
	v_fmac_f32_e32 v32, 0xbe8c1d8e, v52
	v_add_f32_e32 v12, v12, v32
	v_mul_f32_e32 v32, 0x3f06c442, v54
	v_add_f32_e32 v14, v14, v34
	v_fma_f32 v34, v52, s9, -v32
	v_fmac_f32_e32 v32, 0xbf59a7d5, v52
	v_add_f32_e32 v16, v16, v32
	v_mul_f32_e32 v32, 0x3f2c7751, v54
	v_add_f32_e32 v18, v18, v34
	v_fma_f32 v34, v52, s1, -v32
	v_fmac_f32_e32 v32, 0x3f3d2fb0, v52
	v_add_f32_e32 v20, v20, v32
	v_mul_f32_e32 v32, 0xbf65296c, v54
	v_add_f32_e32 v22, v22, v34
	v_fma_f32 v34, v52, s0, -v32
	v_fmac_f32_e32 v32, 0x3ee437d1, v52
	v_add_f32_e32 v23, v23, v32
	v_mul_f32_e32 v32, 0xbe3c28d5, v54
	v_add_f32_e32 v24, v24, v34
	v_fma_f32 v34, v52, s14, -v32
	v_fmac_f32_e32 v32, 0xbf7ba420, v52
	v_add_f32_e32 v26, v26, v32
	v_mul_f32_e32 v32, 0x3f7ee86f, v54
	v_mul_f32_e32 v68, 0x3f6eb680, v52
	v_add_f32_e32 v28, v28, v34
	v_mov_b32_e32 v34, v32
	v_fma_f32 v32, v52, s8, -v32
	v_add_f32_e32 v30, v30, v32
	v_add_f32_e32 v32, v68, v53
	;; [unrolled: 34-line block ×3, first 2 shown]
	v_fmac_f32_e32 v34, 0x3f3d2fb0, v37
	v_add_f32_e32 v1, v1, v32
	v_mul_f32_e32 v32, 0xbf06c442, v31
	v_add_f32_e32 v33, v33, v34
	v_fma_f32 v34, v29, s9, -v32
	v_fmac_f32_e32 v32, 0xbf59a7d5, v29
	v_add_f32_e32 v12, v12, v32
	v_mul_f32_e32 v32, 0x3f65296c, v31
	v_add_f32_e32 v14, v14, v34
	v_fma_f32 v34, v29, s0, -v32
	;; [unrolled: 5-line block ×4, first 2 shown]
	v_fmac_f32_e32 v32, 0xbf1a4643, v29
	v_add_f32_e32 v23, v23, v32
	v_mul_f32_e32 v32, 0xbeb8f4ab, v31
	v_mul_f32_e32 v70, 0x3f3d2fb0, v29
	v_add_f32_e32 v24, v24, v34
	v_fma_f32 v34, v29, s6, -v32
	v_fmac_f32_e32 v32, 0x3f6eb680, v29
	v_mul_f32_e32 v31, 0xbe3c28d5, v31
	v_add_f32_e32 v26, v26, v32
	v_mov_b32_e32 v32, v31
	v_add_f32_e32 v21, v70, v21
	v_fmac_f32_e32 v32, 0xbf7ba420, v29
	v_fma_f32 v29, v29, s14, -v31
	v_add_f32_e32 v1, v1, v21
	v_mul_f32_e32 v21, 0xbe3c28d5, v19
	v_add_f32_e32 v29, v30, v29
	v_fma_f32 v30, v0, s14, -v21
	v_fmac_f32_e32 v21, 0xbf7ba420, v0
	v_add_f32_e32 v12, v12, v21
	v_mul_f32_e32 v21, 0x3eb8f4ab, v19
	v_add_f32_e32 v14, v14, v30
	v_fma_f32 v30, v0, s6, -v21
	v_fmac_f32_e32 v21, 0x3f6eb680, v0
	v_add_f32_e32 v16, v16, v21
	v_mul_f32_e32 v21, 0xbf06c442, v19
	v_add_f32_e32 v18, v18, v30
	v_fma_f32 v30, v0, s9, -v21
	v_fmac_f32_e32 v21, 0xbf59a7d5, v0
	v_add_f32_e32 v20, v20, v21
	v_add_f32_e32 v21, v22, v30
	v_mul_f32_e32 v22, 0x3f2c7751, v19
	v_fma_f32 v30, v0, s1, -v22
	v_fmac_f32_e32 v22, 0x3f3d2fb0, v0
	v_add_f32_e32 v22, v23, v22
	v_add_f32_e32 v23, v24, v30
	v_mul_f32_e32 v24, 0xbf4c4adb, v19
	v_mul_f32_e32 v71, 0xbe8c1d8e, v0
	v_add_f32_e32 v28, v28, v34
	v_fma_f32 v30, v0, s7, -v24
	v_fmac_f32_e32 v24, 0xbf1a4643, v0
	v_mul_f32_e32 v19, 0x3f65296c, v19
	v_add_f32_e32 v3, v38, v3
	v_add_f32_e32 v24, v26, v24
	;; [unrolled: 1-line block ×3, first 2 shown]
	v_mov_b32_e32 v28, v19
	v_add_f32_e32 v2, v71, v2
	v_add_f32_e32 v3, v40, v3
	v_add_f32_e32 v32, v33, v32
	v_fmac_f32_e32 v28, 0x3ee437d1, v0
	v_fma_f32 v0, v0, s0, -v19
	v_add_f32_e32 v1, v1, v2
	v_lshl_add_u32 v2, v49, 6, v27
	v_add_f32_e32 v28, v32, v28
	v_add_f32_e32 v0, v29, v0
	ds_write2_b32 v2, v3, v12 offset1:1
	ds_write2_b32 v2, v16, v20 offset0:2 offset1:3
	ds_write2_b32 v2, v22, v24 offset0:4 offset1:5
	ds_write2_b32 v2, v28, v1 offset0:6 offset1:7
	ds_write2_b32 v2, v10, v11 offset0:8 offset1:9
	ds_write2_b32 v2, v25, v0 offset0:10 offset1:11
	ds_write2_b32 v2, v26, v23 offset0:12 offset1:13
	ds_write2_b32 v2, v21, v18 offset0:14 offset1:15
	ds_write_b32 v2, v14 offset:64
.LBB0_15:
	s_or_b64 exec, exec, s[2:3]
	s_movk_i32 s0, 0xf1
	v_mul_lo_u16_sdwa v0, v49, s0 dst_sel:DWORD dst_unused:UNUSED_PAD src0_sel:BYTE_0 src1_sel:DWORD
	v_lshrrev_b16_e32 v16, 12, v0
	v_mul_lo_u16_e32 v0, 17, v16
	v_sub_u16_e32 v22, v49, v0
	v_mov_b32_e32 v0, 7
	v_mul_u32_u24_sdwa v0, v22, v0 dst_sel:DWORD dst_unused:UNUSED_PAD src0_sel:BYTE_0 src1_sel:DWORD
	v_lshlrev_b32_e32 v12, 3, v0
	s_load_dwordx2 s[2:3], s[4:5], 0x0
	s_waitcnt lgkmcnt(0)
	s_barrier
	global_load_dwordx4 v[28:31], v12, s[12:13]
	global_load_dwordx4 v[0:3], v12, s[12:13] offset:16
	global_load_dwordx4 v[32:35], v12, s[12:13] offset:32
	global_load_dwordx2 v[36:37], v12, s[12:13] offset:48
	ds_read2_b32 v[18:19], v27 offset1:187
	ds_read2_b32 v[12:13], v13 offset0:54 offset1:241
	ds_read2_b32 v[20:21], v15 offset0:44 offset1:231
	;; [unrolled: 1-line block ×3, first 2 shown]
	v_mov_b32_e32 v17, 2
	v_mul_u32_u24_e32 v16, 0x220, v16
	v_lshlrev_b32_sdwa v17, v17, v22 dst_sel:DWORD dst_unused:UNUSED_PAD src0_sel:DWORD src1_sel:BYTE_0
	v_add3_u32 v24, 0, v16, v17
	s_movk_i32 s0, 0x88
	v_cmp_gt_u32_e64 s[0:1], s0, v49
	s_waitcnt vmcnt(0) lgkmcnt(0)
	s_barrier
	v_mul_f32_e32 v16, v19, v29
	v_mul_f32_e32 v17, v44, v29
	;; [unrolled: 1-line block ×13, first 2 shown]
	v_fmac_f32_e32 v17, v19, v28
	v_fma_f32 v23, v47, v30, -v23
	v_fmac_f32_e32 v22, v12, v30
	v_fma_f32 v12, v48, v0, -v26
	v_fmac_f32_e32 v1, v13, v0
	v_fma_f32 v0, v41, v2, -v29
	v_fmac_f32_e32 v33, v21, v32
	v_fma_f32 v19, v45, v34, -v38
	v_fmac_f32_e32 v35, v14, v34
	v_fma_f32 v16, v44, v28, -v16
	v_fma_f32 v13, v42, v32, -v31
	v_fma_f32 v14, v46, v36, -v39
	v_fmac_f32_e32 v37, v15, v36
	v_sub_f32_e32 v0, v43, v0
	v_sub_f32_e32 v19, v23, v19
	;; [unrolled: 1-line block ×7, first 2 shown]
	v_fma_f32 v28, v23, 2.0, -v19
	v_fma_f32 v23, v17, 2.0, -v15
	v_sub_f32_e32 v17, v0, v21
	v_fma_f32 v31, v43, 2.0, -v0
	v_fma_f32 v16, v16, 2.0, -v13
	;; [unrolled: 1-line block ×4, first 2 shown]
	v_sub_f32_e32 v33, v13, v26
	v_add_f32_e32 v34, v15, v14
	v_fma_f32 v36, v0, 2.0, -v17
	v_sub_f32_e32 v35, v31, v28
	v_sub_f32_e32 v26, v16, v12
	;; [unrolled: 1-line block ×3, first 2 shown]
	v_fma_f32 v0, v13, 2.0, -v33
	v_fma_f32 v1, v15, 2.0, -v34
	v_mov_b32_e32 v13, v17
	v_mov_b32_e32 v15, v36
	v_fma_f32 v37, v31, 2.0, -v35
	v_fma_f32 v14, v16, 2.0, -v26
	v_fmac_f32_e32 v13, 0x3f3504f3, v33
	v_fmac_f32_e32 v15, 0xbf3504f3, v0
	v_sub_f32_e32 v12, v35, v30
	v_sub_f32_e32 v14, v37, v14
	v_fmac_f32_e32 v13, 0xbf3504f3, v34
	v_fmac_f32_e32 v15, 0xbf3504f3, v1
	v_mul_f32_e32 v28, 0x3f3504f3, v33
	v_mul_f32_e32 v29, 0x3f3504f3, v34
	;; [unrolled: 1-line block ×4, first 2 shown]
	v_fma_f32 v16, v35, 2.0, -v12
	v_fma_f32 v0, v37, 2.0, -v14
	;; [unrolled: 1-line block ×4, first 2 shown]
	ds_write2_b32 v24, v12, v13 offset0:102 offset1:119
	ds_write2_b32 v24, v16, v17 offset0:34 offset1:51
	;; [unrolled: 1-line block ×3, first 2 shown]
	ds_write2_b32 v24, v0, v1 offset1:17
	s_waitcnt lgkmcnt(0)
	s_barrier
	s_and_saveexec_b64 s[4:5], s[0:1]
	s_cbranch_execz .LBB0_17
; %bb.16:
	v_add_u32_e32 v8, 0x400, v27
	ds_read2_b32 v[16:17], v8 offset0:16 offset1:152
	v_add_u32_e32 v8, 0x800, v27
	ds_read2_b32 v[14:15], v8 offset0:32 offset1:168
	;; [unrolled: 2-line block ×3, first 2 shown]
	v_add_u32_e32 v8, 0x1000, v27
	ds_read2_b32 v[0:1], v27 offset1:136
	ds_read2_b32 v[8:9], v8 offset0:64 offset1:200
	ds_read_b32 v50, v27 offset:5440
.LBB0_17:
	s_or_b64 exec, exec, s[4:5]
	v_mul_f32_e32 v3, v41, v3
	v_fmac_f32_e32 v3, v20, v2
	v_sub_f32_e32 v2, v18, v3
	v_fma_f32 v3, v18, 2.0, -v2
	v_fma_f32 v18, v22, 2.0, -v21
	v_sub_f32_e32 v21, v3, v18
	v_add_f32_e32 v33, v2, v19
	v_fma_f32 v3, v3, 2.0, -v21
	v_fma_f32 v20, v2, 2.0, -v33
	;; [unrolled: 1-line block ×3, first 2 shown]
	v_sub_f32_e32 v18, v3, v2
	v_fma_f32 v2, v3, 2.0, -v18
	v_sub_f32_e32 v3, v20, v32
	v_add_f32_e32 v19, v31, v3
	v_fma_f32 v3, v20, 2.0, -v19
	v_add_f32_e32 v20, v21, v26
	v_fma_f32 v22, v21, 2.0, -v20
	v_add_f32_e32 v21, v33, v29
	v_add_f32_e32 v21, v28, v21
	v_fma_f32 v23, v33, 2.0, -v21
	s_waitcnt lgkmcnt(0)
	s_barrier
	ds_write2_b32 v24, v2, v3 offset1:17
	ds_write2_b32 v24, v22, v23 offset0:34 offset1:51
	ds_write2_b32 v24, v18, v19 offset0:68 offset1:85
	;; [unrolled: 1-line block ×3, first 2 shown]
	s_waitcnt lgkmcnt(0)
	s_barrier
	s_and_saveexec_b64 s[4:5], s[0:1]
	s_cbranch_execnz .LBB0_20
; %bb.18:
	s_or_b64 exec, exec, s[4:5]
	s_and_b64 s[0:1], vcc, s[0:1]
	s_and_saveexec_b64 s[4:5], s[0:1]
	s_cbranch_execnz .LBB0_21
.LBB0_19:
	s_endpgm
.LBB0_20:
	v_add_u32_e32 v10, 0x400, v27
	ds_read2_b32 v[22:23], v10 offset0:16 offset1:152
	v_add_u32_e32 v10, 0x800, v27
	ds_read2_b32 v[18:19], v10 offset0:32 offset1:168
	;; [unrolled: 2-line block ×3, first 2 shown]
	v_add_u32_e32 v10, 0x1000, v27
	ds_read2_b32 v[2:3], v27 offset1:136
	ds_read2_b32 v[10:11], v10 offset0:64 offset1:200
	ds_read_b32 v25, v27 offset:5440
	s_or_b64 exec, exec, s[4:5]
	s_and_b64 s[0:1], vcc, s[0:1]
	s_and_saveexec_b64 s[4:5], s[0:1]
	s_cbranch_execz .LBB0_19
.LBB0_21:
	v_mul_u32_u24_e32 v24, 10, v49
	v_lshlrev_b32_e32 v24, 3, v24
	global_load_dwordx4 v[26:29], v24, s[12:13] offset:1016
	global_load_dwordx4 v[30:33], v24, s[12:13] offset:952
	;; [unrolled: 1-line block ×5, first 2 shown]
	v_mul_lo_u32 v24, s3, v6
	v_mul_lo_u32 v7, s2, v7
	v_mad_u64_u32 v[46:47], s[0:1], s2, v6, 0
	s_mov_b32 s4, 0xbe11bafb
	s_mov_b32 s0, 0xbf75a155
	v_add3_u32 v47, v47, v7, v24
	s_mov_b32 s3, 0x3ed4b147
	s_mov_b32 s1, 0x3f575c64
	;; [unrolled: 1-line block ×3, first 2 shown]
	v_lshlrev_b64 v[4:5], 3, v[4:5]
	s_waitcnt vmcnt(4) lgkmcnt(0)
	v_mul_f32_e32 v24, v25, v28
	s_waitcnt vmcnt(3)
	v_mul_f32_e32 v48, v3, v30
	v_mul_f32_e32 v6, v25, v29
	;; [unrolled: 1-line block ×4, first 2 shown]
	s_waitcnt vmcnt(2)
	v_mul_f32_e32 v53, v21, v34
	v_mul_f32_e32 v21, v21, v35
	v_fmac_f32_e32 v24, v50, v29
	v_fmac_f32_e32 v48, v1, v31
	v_mul_f32_e32 v3, v3, v31
	v_mul_f32_e32 v7, v22, v33
	;; [unrolled: 1-line block ×3, first 2 shown]
	s_waitcnt vmcnt(1)
	v_mul_f32_e32 v52, v23, v38
	v_fmac_f32_e32 v25, v9, v27
	v_fmac_f32_e32 v51, v16, v33
	v_fma_f32 v31, v13, v34, -v21
	v_add_f32_e32 v34, v24, v48
	v_mul_f32_e32 v11, v11, v27
	v_mul_f32_e32 v23, v23, v39
	;; [unrolled: 1-line block ×4, first 2 shown]
	s_waitcnt vmcnt(0)
	v_mul_f32_e32 v55, v20, v44
	v_mul_f32_e32 v20, v20, v45
	v_fma_f32 v1, v1, v30, -v3
	v_fma_f32 v3, v50, v28, -v6
	;; [unrolled: 1-line block ×3, first 2 shown]
	v_fmac_f32_e32 v22, v8, v37
	v_fmac_f32_e32 v52, v17, v39
	v_fmac_f32_e32 v53, v13, v35
	v_add_f32_e32 v35, v25, v51
	v_mul_f32_e32 v16, 0xbe11bafb, v34
	v_mul_f32_e32 v18, v18, v41
	;; [unrolled: 1-line block ×4, first 2 shown]
	v_fma_f32 v26, v9, v26, -v11
	v_fma_f32 v28, v17, v38, -v23
	v_fma_f32 v29, v8, v36, -v10
	v_fmac_f32_e32 v54, v14, v41
	v_fma_f32 v33, v12, v44, -v20
	v_sub_f32_e32 v20, v1, v3
	v_add_f32_e32 v36, v22, v52
	v_mul_f32_e32 v17, 0xbf75a155, v35
	v_mov_b32_e32 v6, v16
	v_fma_f32 v30, v14, v40, -v18
	v_fmac_f32_e32 v55, v12, v45
	v_fmac_f32_e32 v56, v15, v43
	v_fma_f32 v32, v15, v42, -v19
	v_sub_f32_e32 v21, v27, v26
	v_add_f32_e32 v37, v53, v54
	v_sub_f32_e32 v42, v48, v24
	v_mul_f32_e32 v18, 0x3ed4b147, v36
	v_mov_b32_e32 v7, v17
	v_fmac_f32_e32 v6, 0x3f7d64f0, v20
	v_sub_f32_e32 v23, v28, v29
	v_add_f32_e32 v39, v55, v56
	v_sub_f32_e32 v44, v51, v25
	v_mul_f32_e32 v19, 0x3f575c64, v37
	v_mul_f32_e32 v50, 0xbf7d64f0, v42
	v_mov_b32_e32 v8, v18
	v_fmac_f32_e32 v7, 0xbe903f40, v21
	v_add_f32_e32 v6, v2, v6
	v_sub_f32_e32 v38, v30, v31
	v_add_f32_e32 v41, v3, v1
	v_mul_f32_e32 v45, 0xbf27a4f4, v39
	v_mul_f32_e32 v57, 0x3e903f40, v44
	v_mov_b32_e32 v9, v19
	v_mov_b32_e32 v11, v50
	v_fmac_f32_e32 v8, 0xbf68dda4, v23
	v_add_f32_e32 v6, v6, v7
	v_sub_f32_e32 v59, v52, v22
	v_sub_f32_e32 v40, v32, v33
	v_add_f32_e32 v43, v26, v27
	v_mov_b32_e32 v10, v45
	v_mov_b32_e32 v12, v57
	v_fmac_f32_e32 v9, 0x3f0a6770, v38
	v_fmac_f32_e32 v11, 0xbe11bafb, v41
	v_add_f32_e32 v6, v6, v8
	v_mul_f32_e32 v60, 0x3f68dda4, v59
	v_fmac_f32_e32 v10, 0x3f4178ce, v40
	v_fmac_f32_e32 v12, 0xbf75a155, v43
	v_add_f32_e32 v11, v0, v11
	v_add_f32_e32 v6, v6, v9
	;; [unrolled: 1-line block ×3, first 2 shown]
	v_mov_b32_e32 v8, v60
	v_sub_f32_e32 v62, v54, v53
	v_add_f32_e32 v7, v6, v10
	v_add_f32_e32 v6, v11, v12
	v_fmac_f32_e32 v8, 0x3ed4b147, v58
	v_mul_f32_e32 v63, 0xbf0a6770, v62
	v_add_f32_e32 v6, v6, v8
	v_add_f32_e32 v61, v31, v30
	v_mov_b32_e32 v8, v63
	v_sub_f32_e32 v65, v56, v55
	v_fmac_f32_e32 v8, 0x3f575c64, v61
	v_mul_f32_e32 v66, 0xbf4178ce, v65
	v_add_f32_e32 v6, v6, v8
	v_add_f32_e32 v64, v33, v32
	v_mov_b32_e32 v8, v66
	v_fmac_f32_e32 v8, 0xbf27a4f4, v64
	v_mul_f32_e32 v14, 0xbf27a4f4, v34
	v_add_f32_e32 v6, v6, v8
	v_mov_b32_e32 v8, v14
	v_mul_f32_e32 v15, 0xbe11bafb, v35
	v_fmac_f32_e32 v8, 0x3f4178ce, v20
	v_mov_b32_e32 v9, v15
	v_fmac_f32_e32 v16, 0xbf7d64f0, v20
	v_add_f32_e32 v8, v2, v8
	v_fmac_f32_e32 v9, 0xbf7d64f0, v21
	v_mul_f32_e32 v67, 0x3f575c64, v36
	v_add_f32_e32 v16, v2, v16
	v_fmac_f32_e32 v17, 0x3e903f40, v21
	v_add_f32_e32 v8, v8, v9
	v_mov_b32_e32 v9, v67
	v_add_f32_e32 v16, v16, v17
	v_fmac_f32_e32 v18, 0x3f68dda4, v23
	v_fmac_f32_e32 v9, 0x3f0a6770, v23
	v_mul_f32_e32 v68, 0xbf75a155, v37
	v_add_f32_e32 v16, v16, v18
	v_fmac_f32_e32 v19, 0xbf0a6770, v38
	v_add_f32_e32 v8, v8, v9
	v_mov_b32_e32 v9, v68
	v_add_f32_e32 v16, v16, v19
	v_fmac_f32_e32 v45, 0xbf4178ce, v40
	v_fmac_f32_e32 v9, 0x3e903f40, v38
	v_mul_f32_e32 v70, 0xbf4178ce, v42
	v_add_f32_e32 v17, v16, v45
	v_fma_f32 v16, v41, s4, -v50
	v_add_f32_e32 v8, v8, v9
	v_mov_b32_e32 v9, v70
	v_mul_f32_e32 v71, 0x3f7d64f0, v44
	v_add_f32_e32 v16, v0, v16
	v_fma_f32 v18, v43, s0, -v57
	v_fmac_f32_e32 v9, 0xbf27a4f4, v41
	v_mov_b32_e32 v10, v71
	v_add_f32_e32 v16, v16, v18
	v_fma_f32 v18, v58, s3, -v60
	v_add_f32_e32 v9, v0, v9
	v_fmac_f32_e32 v10, 0xbe11bafb, v43
	v_mul_f32_e32 v72, 0xbf0a6770, v59
	v_add_f32_e32 v16, v16, v18
	v_fma_f32 v18, v61, s1, -v63
	v_add_f32_e32 v9, v9, v10
	v_mov_b32_e32 v10, v72
	v_fmac_f32_e32 v14, 0xbf4178ce, v20
	v_add_f32_e32 v16, v16, v18
	v_fma_f32 v18, v64, s2, -v66
	v_mul_f32_e32 v45, 0xbf68dda4, v20
	v_fmac_f32_e32 v10, 0x3f575c64, v58
	v_mul_f32_e32 v73, 0xbe903f40, v62
	v_add_f32_e32 v14, v2, v14
	v_fmac_f32_e32 v15, 0x3f7d64f0, v21
	v_add_f32_e32 v16, v16, v18
	v_mov_b32_e32 v18, v45
	v_mul_f32_e32 v50, 0xbf4178ce, v21
	v_add_f32_e32 v9, v9, v10
	v_mov_b32_e32 v10, v73
	v_add_f32_e32 v14, v14, v15
	v_fmac_f32_e32 v67, 0xbf0a6770, v23
	v_fmac_f32_e32 v18, 0x3ed4b147, v34
	v_mov_b32_e32 v19, v50
	v_mul_f32_e32 v69, 0x3ed4b147, v39
	v_fmac_f32_e32 v10, 0xbf75a155, v61
	v_add_f32_e32 v14, v14, v67
	v_fmac_f32_e32 v68, 0xbe903f40, v38
	v_fma_f32 v15, v41, s2, -v70
	v_add_f32_e32 v18, v2, v18
	v_fmac_f32_e32 v19, 0xbf27a4f4, v35
	v_mul_f32_e32 v57, 0x3e903f40, v23
	v_add_f32_e32 v10, v9, v10
	v_mov_b32_e32 v9, v69
	v_add_f32_e32 v14, v14, v68
	v_add_f32_e32 v15, v0, v15
	v_fma_f32 v67, v43, s4, -v71
	v_fmac_f32_e32 v69, 0x3f68dda4, v40
	v_add_f32_e32 v18, v18, v19
	v_mov_b32_e32 v19, v57
	v_add_f32_e32 v67, v15, v67
	v_add_f32_e32 v15, v14, v69
	v_fma_f32 v14, v58, s1, -v72
	v_fmac_f32_e32 v19, 0xbf75a155, v36
	v_mul_f32_e32 v60, 0x3f7d64f0, v38
	v_mul_f32_e32 v74, 0x3f68dda4, v65
	v_add_f32_e32 v14, v67, v14
	v_fma_f32 v67, v61, s0, -v73
	v_add_f32_e32 v18, v18, v19
	v_mov_b32_e32 v19, v60
	v_add_f32_e32 v14, v14, v67
	v_fma_f32 v67, v64, s3, -v74
	v_fmac_f32_e32 v19, 0xbe11bafb, v37
	v_mul_f32_e32 v66, 0xbf68dda4, v42
	v_fmac_f32_e32 v9, 0xbf68dda4, v40
	v_add_f32_e32 v14, v14, v67
	v_add_f32_e32 v18, v18, v19
	v_fma_f32 v19, v41, s3, -v66
	v_mul_f32_e32 v67, 0xbf4178ce, v44
	v_add_f32_e32 v9, v8, v9
	v_mov_b32_e32 v8, v74
	v_add_f32_e32 v19, v0, v19
	v_fma_f32 v68, v43, s2, -v67
	v_fmac_f32_e32 v8, 0x3ed4b147, v64
	v_mul_f32_e32 v12, 0xbf75a155, v34
	v_add_f32_e32 v19, v19, v68
	v_mul_f32_e32 v68, 0x3e903f40, v59
	v_add_f32_e32 v8, v10, v8
	v_mov_b32_e32 v10, v12
	v_mul_f32_e32 v13, 0x3f575c64, v35
	v_fma_f32 v69, v58, s0, -v68
	v_fmac_f32_e32 v10, 0x3e903f40, v20
	v_mov_b32_e32 v11, v13
	v_add_f32_e32 v19, v19, v69
	v_mul_f32_e32 v69, 0x3f7d64f0, v62
	v_add_f32_e32 v10, v2, v10
	v_fmac_f32_e32 v11, 0xbf0a6770, v21
	v_mul_f32_e32 v75, 0xbf27a4f4, v36
	v_mul_f32_e32 v63, 0x3f0a6770, v40
	v_fma_f32 v70, v61, s4, -v69
	v_add_f32_e32 v10, v10, v11
	v_mov_b32_e32 v11, v75
	v_add_f32_e32 v70, v19, v70
	v_mov_b32_e32 v19, v63
	v_fmac_f32_e32 v11, 0x3f4178ce, v23
	v_mul_f32_e32 v76, 0x3ed4b147, v37
	v_fmac_f32_e32 v19, 0x3f575c64, v39
	v_mul_f32_e32 v71, 0x3f0a6770, v65
	v_add_f32_e32 v10, v10, v11
	v_mov_b32_e32 v11, v76
	v_add_f32_e32 v19, v18, v19
	v_fma_f32 v18, v64, s1, -v71
	v_fmac_f32_e32 v11, 0xbf68dda4, v38
	v_mul_f32_e32 v77, 0xbe903f40, v42
	v_add_f32_e32 v18, v70, v18
	v_mul_f32_e32 v70, 0xbf0a6770, v20
	v_add_f32_e32 v10, v10, v11
	v_mov_b32_e32 v11, v77
	v_mul_f32_e32 v78, 0x3f0a6770, v44
	v_fmac_f32_e32 v12, 0xbe903f40, v20
	v_mov_b32_e32 v20, v70
	v_mul_f32_e32 v72, 0xbf68dda4, v21
	v_fmac_f32_e32 v11, 0xbf75a155, v41
	v_mov_b32_e32 v79, v78
	v_fmac_f32_e32 v13, 0x3f0a6770, v21
	v_fmac_f32_e32 v20, 0x3f575c64, v34
	v_mov_b32_e32 v21, v72
	v_add_f32_e32 v11, v0, v11
	v_fmac_f32_e32 v79, 0x3f575c64, v43
	v_add_f32_e32 v20, v2, v20
	v_fmac_f32_e32 v21, 0x3ed4b147, v35
	v_mul_f32_e32 v73, 0xbf7d64f0, v23
	v_add_f32_e32 v11, v11, v79
	v_mul_f32_e32 v79, 0xbf4178ce, v59
	v_add_f32_e32 v20, v20, v21
	v_mov_b32_e32 v21, v73
	v_mov_b32_e32 v80, v79
	v_fmac_f32_e32 v76, 0x3f68dda4, v38
	v_fmac_f32_e32 v21, 0xbe11bafb, v36
	v_mul_f32_e32 v38, 0xbf4178ce, v38
	v_fmac_f32_e32 v80, 0xbf27a4f4, v58
	v_add_f32_e32 v20, v20, v21
	v_mov_b32_e32 v21, v38
	v_add_f32_e32 v11, v11, v80
	v_mul_f32_e32 v80, 0x3f68dda4, v62
	v_fmac_f32_e32 v21, 0xbf27a4f4, v37
	v_mul_f32_e32 v42, 0xbf0a6770, v42
	v_mov_b32_e32 v81, v80
	v_add_f32_e32 v20, v20, v21
	v_fma_f32 v21, v41, s1, -v42
	v_mul_f32_e32 v44, 0xbf68dda4, v44
	v_fmac_f32_e32 v81, 0x3ed4b147, v61
	v_mul_f32_e32 v82, 0xbe11bafb, v39
	v_fmac_f32_e32 v75, 0xbf4178ce, v23
	v_add_f32_e32 v21, v0, v21
	v_fma_f32 v23, v43, s3, -v44
	v_mul_f32_e32 v59, 0xbf7d64f0, v59
	v_add_f32_e32 v81, v11, v81
	v_mov_b32_e32 v11, v82
	v_add_f32_e32 v21, v21, v23
	v_fma_f32 v23, v58, s4, -v59
	v_mul_f32_e32 v62, 0xbf4178ce, v62
	v_fmac_f32_e32 v11, 0x3f7d64f0, v40
	v_fmac_f32_e32 v82, 0xbf7d64f0, v40
	v_add_f32_e32 v21, v21, v23
	v_fma_f32 v23, v61, s2, -v62
	v_mul_f32_e32 v40, 0xbe903f40, v40
	v_add_f32_e32 v23, v21, v23
	v_mov_b32_e32 v21, v40
	v_mul_f32_e32 v83, 0xbf7d64f0, v65
	v_fmac_f32_e32 v21, 0xbf75a155, v39
	v_mul_f32_e32 v65, 0xbe903f40, v65
	v_add_f32_e32 v21, v20, v21
	v_fma_f32 v20, v64, s0, -v65
	v_add_f32_e32 v20, v23, v20
	v_add_f32_e32 v23, v2, v48
	;; [unrolled: 1-line block ×21, first 2 shown]
	v_fma_f32 v1, v34, s3, -v45
	v_add_f32_e32 v1, v2, v1
	v_fma_f32 v3, v35, s2, -v50
	v_add_f32_e32 v1, v1, v3
	;; [unrolled: 2-line block ×4, first 2 shown]
	v_fma_f32 v3, v39, s1, -v63
	v_fmac_f32_e32 v66, 0x3ed4b147, v41
	v_add_f32_e32 v25, v1, v3
	v_add_f32_e32 v1, v0, v66
	v_fmac_f32_e32 v67, 0xbf27a4f4, v43
	v_add_f32_e32 v1, v1, v67
	v_fmac_f32_e32 v68, 0xbf75a155, v58
	;; [unrolled: 2-line block ×4, first 2 shown]
	v_add_f32_e32 v24, v1, v71
	v_fma_f32 v1, v34, s1, -v70
	v_add_f32_e32 v12, v2, v12
	v_add_f32_e32 v1, v2, v1
	v_fma_f32 v2, v35, s3, -v72
	v_add_f32_e32 v1, v1, v2
	v_fma_f32 v2, v36, s4, -v73
	v_add_f32_e32 v1, v1, v2
	v_fma_f32 v2, v37, s2, -v38
	v_add_f32_e32 v12, v12, v13
	v_add_f32_e32 v1, v1, v2
	v_fma_f32 v2, v39, s0, -v40
	v_add_f32_e32 v12, v12, v75
	v_fma_f32 v13, v41, s0, -v77
	v_fma_f32 v75, v43, s1, -v78
	v_add_f32_e32 v1, v1, v2
	v_mad_u64_u32 v[2:3], s[0:1], s20, v49, 0
	v_fmac_f32_e32 v42, 0x3f575c64, v41
	v_add_f32_e32 v13, v0, v13
	v_add_f32_e32 v0, v0, v42
	v_fmac_f32_e32 v44, 0x3ed4b147, v43
	v_add_f32_e32 v0, v0, v44
	v_fmac_f32_e32 v59, 0xbe11bafb, v58
	v_add_f32_e32 v28, v0, v59
	v_mov_b32_e32 v0, v3
	v_mad_u64_u32 v[26:27], s[0:1], s21, v49, v[0:1]
	v_fmac_f32_e32 v62, 0xbf27a4f4, v61
	v_add_f32_e32 v0, v28, v62
	v_mov_b32_e32 v3, v26
	v_lshlrev_b64 v[26:27], 3, v[46:47]
	v_mov_b32_e32 v28, s11
	v_add_co_u32_e32 v26, vcc, s10, v26
	v_addc_co_u32_e32 v27, vcc, v28, v27, vcc
	v_add_co_u32_e32 v29, vcc, v26, v4
	v_add_u32_e32 v26, 0x88, v49
	v_addc_co_u32_e32 v30, vcc, v27, v5, vcc
	v_mad_u64_u32 v[4:5], s[0:1], s20, v26, 0
	v_add_u32_e32 v31, 0x110, v49
	v_lshlrev_b64 v[2:3], 3, v[2:3]
	v_mad_u64_u32 v[26:27], s[0:1], s21, v26, v[5:6]
	v_mad_u64_u32 v[27:28], s[0:1], s20, v31, 0
	v_add_co_u32_e32 v2, vcc, v29, v2
	v_addc_co_u32_e32 v3, vcc, v30, v3, vcc
	v_mov_b32_e32 v5, v26
	global_store_dwordx2 v[2:3], v[22:23], off
	v_lshlrev_b64 v[2:3], 3, v[4:5]
	v_mov_b32_e32 v4, v28
	v_mad_u64_u32 v[4:5], s[0:1], s21, v31, v[4:5]
	v_add_co_u32_e32 v2, vcc, v29, v2
	v_addc_co_u32_e32 v3, vcc, v30, v3, vcc
	global_store_dwordx2 v[2:3], v[20:21], off
	v_add_u32_e32 v20, 0x198, v49
	v_mov_b32_e32 v28, v4
	v_mad_u64_u32 v[4:5], s[0:1], s20, v20, 0
	v_add_u32_e32 v23, 0x220, v49
	v_lshlrev_b64 v[2:3], 3, v[27:28]
	v_mad_u64_u32 v[20:21], s[0:1], s21, v20, v[5:6]
	v_mad_u64_u32 v[21:22], s[0:1], s20, v23, 0
	v_add_co_u32_e32 v2, vcc, v29, v2
	v_addc_co_u32_e32 v3, vcc, v30, v3, vcc
	v_mov_b32_e32 v5, v20
	global_store_dwordx2 v[2:3], v[18:19], off
	v_lshlrev_b64 v[2:3], 3, v[4:5]
	v_mov_b32_e32 v4, v22
	v_mad_u64_u32 v[4:5], s[0:1], s21, v23, v[4:5]
	v_add_co_u32_e32 v2, vcc, v29, v2
	v_addc_co_u32_e32 v3, vcc, v30, v3, vcc
	global_store_dwordx2 v[2:3], v[16:17], off
	v_add_u32_e32 v16, 0x2a8, v49
	v_mov_b32_e32 v22, v4
	v_mad_u64_u32 v[4:5], s[0:1], s20, v16, 0
	v_add_u32_e32 v19, 0x330, v49
	v_lshlrev_b64 v[2:3], 3, v[21:22]
	v_mad_u64_u32 v[16:17], s[0:1], s21, v16, v[5:6]
	v_mad_u64_u32 v[17:18], s[0:1], s20, v19, 0
	v_add_co_u32_e32 v2, vcc, v29, v2
	v_addc_co_u32_e32 v3, vcc, v30, v3, vcc
	v_mov_b32_e32 v5, v16
	v_add_f32_e32 v13, v13, v75
	v_fma_f32 v75, v58, s2, -v79
	global_store_dwordx2 v[2:3], v[14:15], off
	v_lshlrev_b64 v[2:3], 3, v[4:5]
	v_mov_b32_e32 v4, v18
	v_add_f32_e32 v12, v12, v76
	v_add_f32_e32 v13, v13, v75
	v_fma_f32 v75, v61, s3, -v80
	v_mad_u64_u32 v[4:5], s[0:1], s21, v19, v[4:5]
	v_add_f32_e32 v75, v13, v75
	v_add_f32_e32 v13, v12, v82
	v_fma_f32 v12, v64, s4, -v83
	v_add_co_u32_e32 v2, vcc, v29, v2
	v_add_f32_e32 v12, v75, v12
	v_addc_co_u32_e32 v3, vcc, v30, v3, vcc
	global_store_dwordx2 v[2:3], v[12:13], off
	v_add_u32_e32 v12, 0x3b8, v49
	v_mov_b32_e32 v18, v4
	v_mad_u64_u32 v[4:5], s[0:1], s20, v12, 0
	v_add_u32_e32 v15, 0x440, v49
	v_lshlrev_b64 v[2:3], 3, v[17:18]
	v_mad_u64_u32 v[12:13], s[0:1], s21, v12, v[5:6]
	v_mad_u64_u32 v[13:14], s[0:1], s20, v15, 0
	v_add_f32_e32 v11, v10, v11
	v_mov_b32_e32 v10, v83
	v_fmac_f32_e32 v10, 0xbe11bafb, v64
	v_add_co_u32_e32 v2, vcc, v29, v2
	v_add_f32_e32 v10, v81, v10
	v_addc_co_u32_e32 v3, vcc, v30, v3, vcc
	v_mov_b32_e32 v5, v12
	global_store_dwordx2 v[2:3], v[10:11], off
	v_lshlrev_b64 v[2:3], 3, v[4:5]
	v_mov_b32_e32 v4, v14
	v_mad_u64_u32 v[4:5], s[0:1], s21, v15, v[4:5]
	v_add_co_u32_e32 v2, vcc, v29, v2
	v_addc_co_u32_e32 v3, vcc, v30, v3, vcc
	global_store_dwordx2 v[2:3], v[8:9], off
	v_add_u32_e32 v8, 0x4c8, v49
	v_mov_b32_e32 v14, v4
	v_mad_u64_u32 v[4:5], s[0:1], s20, v8, 0
	v_add_u32_e32 v11, 0x550, v49
	v_lshlrev_b64 v[2:3], 3, v[13:14]
	v_mad_u64_u32 v[8:9], s[0:1], s21, v8, v[5:6]
	v_mad_u64_u32 v[9:10], s[0:1], s20, v11, 0
	v_add_co_u32_e32 v2, vcc, v29, v2
	v_addc_co_u32_e32 v3, vcc, v30, v3, vcc
	v_mov_b32_e32 v5, v8
	global_store_dwordx2 v[2:3], v[6:7], off
	v_lshlrev_b64 v[2:3], 3, v[4:5]
	v_mov_b32_e32 v4, v10
	v_mad_u64_u32 v[4:5], s[0:1], s21, v11, v[4:5]
	v_add_co_u32_e32 v2, vcc, v29, v2
	v_addc_co_u32_e32 v3, vcc, v30, v3, vcc
	v_mov_b32_e32 v10, v4
	global_store_dwordx2 v[2:3], v[24:25], off
	v_lshlrev_b64 v[2:3], 3, v[9:10]
	v_fmac_f32_e32 v65, 0xbf75a155, v64
	v_add_co_u32_e32 v2, vcc, v29, v2
	v_add_f32_e32 v0, v0, v65
	v_addc_co_u32_e32 v3, vcc, v30, v3, vcc
	global_store_dwordx2 v[2:3], v[0:1], off
	s_endpgm
	.section	.rodata,"a",@progbits
	.p2align	6, 0x0
	.amdhsa_kernel fft_rtc_fwd_len1496_factors_17_8_11_wgs_187_tpt_187_halfLds_sp_op_CI_CI_sbrr_dirReg
		.amdhsa_group_segment_fixed_size 0
		.amdhsa_private_segment_fixed_size 0
		.amdhsa_kernarg_size 104
		.amdhsa_user_sgpr_count 6
		.amdhsa_user_sgpr_private_segment_buffer 1
		.amdhsa_user_sgpr_dispatch_ptr 0
		.amdhsa_user_sgpr_queue_ptr 0
		.amdhsa_user_sgpr_kernarg_segment_ptr 1
		.amdhsa_user_sgpr_dispatch_id 0
		.amdhsa_user_sgpr_flat_scratch_init 0
		.amdhsa_user_sgpr_private_segment_size 0
		.amdhsa_uses_dynamic_stack 0
		.amdhsa_system_sgpr_private_segment_wavefront_offset 0
		.amdhsa_system_sgpr_workgroup_id_x 1
		.amdhsa_system_sgpr_workgroup_id_y 0
		.amdhsa_system_sgpr_workgroup_id_z 0
		.amdhsa_system_sgpr_workgroup_info 0
		.amdhsa_system_vgpr_workitem_id 0
		.amdhsa_next_free_vgpr 84
		.amdhsa_next_free_sgpr 32
		.amdhsa_reserve_vcc 1
		.amdhsa_reserve_flat_scratch 0
		.amdhsa_float_round_mode_32 0
		.amdhsa_float_round_mode_16_64 0
		.amdhsa_float_denorm_mode_32 3
		.amdhsa_float_denorm_mode_16_64 3
		.amdhsa_dx10_clamp 1
		.amdhsa_ieee_mode 1
		.amdhsa_fp16_overflow 0
		.amdhsa_exception_fp_ieee_invalid_op 0
		.amdhsa_exception_fp_denorm_src 0
		.amdhsa_exception_fp_ieee_div_zero 0
		.amdhsa_exception_fp_ieee_overflow 0
		.amdhsa_exception_fp_ieee_underflow 0
		.amdhsa_exception_fp_ieee_inexact 0
		.amdhsa_exception_int_div_zero 0
	.end_amdhsa_kernel
	.text
.Lfunc_end0:
	.size	fft_rtc_fwd_len1496_factors_17_8_11_wgs_187_tpt_187_halfLds_sp_op_CI_CI_sbrr_dirReg, .Lfunc_end0-fft_rtc_fwd_len1496_factors_17_8_11_wgs_187_tpt_187_halfLds_sp_op_CI_CI_sbrr_dirReg
                                        ; -- End function
	.section	.AMDGPU.csdata,"",@progbits
; Kernel info:
; codeLenInByte = 11360
; NumSgprs: 36
; NumVgprs: 84
; ScratchSize: 0
; MemoryBound: 0
; FloatMode: 240
; IeeeMode: 1
; LDSByteSize: 0 bytes/workgroup (compile time only)
; SGPRBlocks: 4
; VGPRBlocks: 20
; NumSGPRsForWavesPerEU: 36
; NumVGPRsForWavesPerEU: 84
; Occupancy: 3
; WaveLimiterHint : 1
; COMPUTE_PGM_RSRC2:SCRATCH_EN: 0
; COMPUTE_PGM_RSRC2:USER_SGPR: 6
; COMPUTE_PGM_RSRC2:TRAP_HANDLER: 0
; COMPUTE_PGM_RSRC2:TGID_X_EN: 1
; COMPUTE_PGM_RSRC2:TGID_Y_EN: 0
; COMPUTE_PGM_RSRC2:TGID_Z_EN: 0
; COMPUTE_PGM_RSRC2:TIDIG_COMP_CNT: 0
	.type	__hip_cuid_ee5c238b47319d2d,@object ; @__hip_cuid_ee5c238b47319d2d
	.section	.bss,"aw",@nobits
	.globl	__hip_cuid_ee5c238b47319d2d
__hip_cuid_ee5c238b47319d2d:
	.byte	0                               ; 0x0
	.size	__hip_cuid_ee5c238b47319d2d, 1

	.ident	"AMD clang version 19.0.0git (https://github.com/RadeonOpenCompute/llvm-project roc-6.4.0 25133 c7fe45cf4b819c5991fe208aaa96edf142730f1d)"
	.section	".note.GNU-stack","",@progbits
	.addrsig
	.addrsig_sym __hip_cuid_ee5c238b47319d2d
	.amdgpu_metadata
---
amdhsa.kernels:
  - .args:
      - .actual_access:  read_only
        .address_space:  global
        .offset:         0
        .size:           8
        .value_kind:     global_buffer
      - .offset:         8
        .size:           8
        .value_kind:     by_value
      - .actual_access:  read_only
        .address_space:  global
        .offset:         16
        .size:           8
        .value_kind:     global_buffer
      - .actual_access:  read_only
        .address_space:  global
        .offset:         24
        .size:           8
        .value_kind:     global_buffer
      - .actual_access:  read_only
        .address_space:  global
        .offset:         32
        .size:           8
        .value_kind:     global_buffer
      - .offset:         40
        .size:           8
        .value_kind:     by_value
      - .actual_access:  read_only
        .address_space:  global
        .offset:         48
        .size:           8
        .value_kind:     global_buffer
      - .actual_access:  read_only
        .address_space:  global
        .offset:         56
        .size:           8
        .value_kind:     global_buffer
      - .offset:         64
        .size:           4
        .value_kind:     by_value
      - .actual_access:  read_only
        .address_space:  global
        .offset:         72
        .size:           8
        .value_kind:     global_buffer
      - .actual_access:  read_only
        .address_space:  global
        .offset:         80
        .size:           8
        .value_kind:     global_buffer
      - .actual_access:  read_only
        .address_space:  global
        .offset:         88
        .size:           8
        .value_kind:     global_buffer
      - .actual_access:  write_only
        .address_space:  global
        .offset:         96
        .size:           8
        .value_kind:     global_buffer
    .group_segment_fixed_size: 0
    .kernarg_segment_align: 8
    .kernarg_segment_size: 104
    .language:       OpenCL C
    .language_version:
      - 2
      - 0
    .max_flat_workgroup_size: 187
    .name:           fft_rtc_fwd_len1496_factors_17_8_11_wgs_187_tpt_187_halfLds_sp_op_CI_CI_sbrr_dirReg
    .private_segment_fixed_size: 0
    .sgpr_count:     36
    .sgpr_spill_count: 0
    .symbol:         fft_rtc_fwd_len1496_factors_17_8_11_wgs_187_tpt_187_halfLds_sp_op_CI_CI_sbrr_dirReg.kd
    .uniform_work_group_size: 1
    .uses_dynamic_stack: false
    .vgpr_count:     84
    .vgpr_spill_count: 0
    .wavefront_size: 64
amdhsa.target:   amdgcn-amd-amdhsa--gfx906
amdhsa.version:
  - 1
  - 2
...

	.end_amdgpu_metadata
